;; amdgpu-corpus repo=zjin-lcf/HeCBench kind=compiled arch=gfx1100 opt=O3
	.text
	.amdgcn_target "amdgcn-amd-amdhsa--gfx1100"
	.amdhsa_code_object_version 6
	.protected	_Z9conv_rowsPfPKfS1_iii ; -- Begin function _Z9conv_rowsPfPKfS1_iii
	.globl	_Z9conv_rowsPfPKfS1_iii
	.p2align	8
	.type	_Z9conv_rowsPfPKfS1_iii,@function
_Z9conv_rowsPfPKfS1_iii:                ; @_Z9conv_rowsPfPKfS1_iii
; %bb.0:
	s_load_b32 s2, s[0:1], 0x20
	v_and_b32_e32 v5, 0x3ff, v0
	v_bfe_u32 v6, v0, 10, 10
	s_lshl_b32 s3, s14, 7
	s_clause 0x1
	s_load_b128 s[4:7], s[0:1], 0x0
	s_load_b64 s[8:9], s[0:1], 0x10
	v_add3_u32 v4, v5, s3, -16
	v_lshl_add_u32 v2, s15, 2, v6
	v_mov_b32_e32 v7, 0
	s_waitcnt lgkmcnt(0)
	s_delay_alu instid0(VALU_DEP_2) | instskip(SKIP_2) | instid1(VALU_DEP_1)
	v_mad_u64_u32 v[0:1], null, v2, s2, v[4:5]
	v_lshlrev_b32_e32 v5, 2, v5
	s_mov_b32 s2, exec_lo
	v_mad_u32_u24 v5, 0x280, v6, v5
	s_delay_alu instid0(VALU_DEP_3) | instskip(SKIP_1) | instid1(VALU_DEP_2)
	v_ashrrev_i32_e32 v1, 31, v0
	v_mov_b32_e32 v6, 0
	v_lshlrev_b64 v[0:1], 2, v[0:1]
	s_delay_alu instid0(VALU_DEP_1) | instskip(NEXT) | instid1(VALU_DEP_2)
	v_add_co_u32 v2, vcc_lo, s6, v0
	v_add_co_ci_u32_e32 v3, vcc_lo, s7, v1, vcc_lo
	s_clause 0x7
	global_load_b32 v8, v[2:3], off offset:64
	global_load_b32 v9, v[2:3], off offset:128
	;; [unrolled: 1-line block ×8, first 2 shown]
	s_waitcnt vmcnt(6)
	ds_store_2addr_b32 v5, v8, v9 offset0:16 offset1:32
	s_waitcnt vmcnt(4)
	ds_store_2addr_b32 v5, v10, v11 offset0:48 offset1:64
	;; [unrolled: 2-line block ×4, first 2 shown]
	v_cmpx_lt_i32_e32 -1, v4
	s_cbranch_execz .LBB0_2
; %bb.1:
	global_load_b32 v7, v[2:3], off
.LBB0_2:
	s_or_b32 exec_lo, exec_lo, s2
	s_load_b32 s0, s[0:1], 0x18
	v_add_nc_u32_e32 v4, 0x90, v4
	s_waitcnt vmcnt(0)
	ds_store_b32 v5, v7
	s_waitcnt lgkmcnt(0)
	v_cmp_gt_i32_e32 vcc_lo, s0, v4
	s_and_saveexec_b32 s0, vcc_lo
	s_cbranch_execz .LBB0_4
; %bb.3:
	global_load_b32 v6, v[2:3], off offset:576
.LBB0_4:
	s_or_b32 exec_lo, exec_lo, s0
	s_waitcnt vmcnt(0)
	ds_store_b32 v5, v6 offset:576
	s_waitcnt lgkmcnt(0)
	s_barrier
	buffer_gl0_inv
	s_load_b64 s[18:19], s[8:9], 0x3c
	ds_load_2addr_b32 v[2:3], v5 offset0:8 offset1:9
	s_clause 0x2
	s_load_b64 s[16:17], s[8:9], 0x38
	s_load_b64 s[0:1], s[8:9], 0x4
	;; [unrolled: 1-line block ×3, first 2 shown]
	ds_load_2addr_b32 v[6:7], v5 offset0:10 offset1:11
	s_clause 0x3
	s_load_b64 s[2:3], s[8:9], 0xc
	s_load_b64 s[6:7], s[8:9], 0x10
	;; [unrolled: 1-line block ×4, first 2 shown]
	ds_load_2addr_b32 v[8:9], v5 offset0:12 offset1:13
	ds_load_2addr_b32 v[10:11], v5 offset0:14 offset1:15
	s_clause 0x3
	s_load_b64 s[20:21], s[8:9], 0x3c
	s_load_b32 s33, s[8:9], 0x38
	s_load_b32 s44, s[8:9], 0x38
	s_load_b64 s[22:23], s[8:9], 0x14
	ds_load_2addr_b32 v[12:13], v5 offset0:24 offset1:25
	s_clause 0x9
	s_load_b32 s48, s[8:9], 0x34
	s_load_b32 s42, s[8:9], 0x34
	s_load_b64 s[34:35], s[8:9], 0x28
	s_load_b64 s[24:25], s[8:9], 0x18
	;; [unrolled: 1-line block ×4, first 2 shown]
	s_load_b32 s46, s[8:9], 0x2c
	s_load_b32 s50, s[8:9], 0x30
	;; [unrolled: 1-line block ×4, first 2 shown]
	v_add_co_u32 v0, vcc_lo, s4, v0
	v_add_co_ci_u32_e32 v1, vcc_lo, s5, v1, vcc_lo
	s_waitcnt lgkmcnt(0)
	v_fma_f32 v2, s19, v2, 0
	s_delay_alu instid0(VALU_DEP_1) | instskip(SKIP_1) | instid1(VALU_DEP_2)
	v_fmac_f32_e32 v2, s17, v3
	v_fma_f32 v50, s21, v12, 0
	v_fmac_f32_e32 v2, s13, v6
	s_delay_alu instid0(VALU_DEP_1)
	v_fmac_f32_e32 v2, s15, v7
	ds_load_2addr_b32 v[3:4], v5 offset0:26 offset1:27
	ds_load_2addr_b32 v[6:7], v5 offset0:40 offset1:41
	s_clause 0x1
	s_load_b32 s47, s[8:9], 0x28
	s_load_b32 s19, s[8:9], 0x28
	ds_load_2addr_b32 v[14:15], v5 offset0:28 offset1:29
	ds_load_2addr_b32 v[16:17], v5 offset0:30 offset1:31
	s_clause 0x1
	s_load_b32 s51, s[8:9], 0x3c
	s_load_b64 s[30:31], s[8:9], 0x20
	v_fmac_f32_e32 v2, s11, v8
	ds_load_2addr_b32 v[18:19], v5 offset0:42 offset1:43
	v_fmac_f32_e32 v50, s17, v13
	s_load_b32 s45, s[8:9], 0x20
	v_fmac_f32_e32 v2, s35, v9
	ds_load_2addr_b32 v[8:9], v5 offset0:16 offset1:17
	s_clause 0x2
	s_load_b32 s49, s[8:9], 0x24
	s_load_b32 s40, s[8:9], 0x24
	s_load_b32 s17, s[8:9], 0x20
	ds_load_2addr_b32 v[20:21], v5 offset0:18 offset1:19
	ds_load_2addr_b32 v[22:23], v5 offset0:44 offset1:45
	;; [unrolled: 1-line block ×3, first 2 shown]
	s_waitcnt lgkmcnt(0)
	v_fma_f32 v51, s21, v6, 0
	s_delay_alu instid0(VALU_DEP_1) | instskip(NEXT) | instid1(VALU_DEP_1)
	v_fmac_f32_e32 v51, s51, v7
	v_fmac_f32_e32 v51, s33, v18
	s_delay_alu instid0(VALU_DEP_1) | instskip(NEXT) | instid1(VALU_DEP_1)
	v_fmac_f32_e32 v51, s48, v19
	v_fmac_f32_e32 v51, s50, v22
	s_delay_alu instid0(VALU_DEP_1) | instskip(NEXT) | instid1(VALU_DEP_1)
	v_fmac_f32_e32 v51, s46, v23
	v_dual_fmac_f32 v51, s47, v24 :: v_dual_fmac_f32 v2, s29, v10
	s_delay_alu instid0(VALU_DEP_1)
	v_dual_fmac_f32 v51, s49, v25 :: v_dual_fmac_f32 v50, s13, v3
	s_clause 0x3
	s_load_b32 s13, s[8:9], 0x1c
	s_load_b32 s21, s[8:9], 0x40
	;; [unrolled: 1-line block ×4, first 2 shown]
	v_fmac_f32_e32 v2, s31, v11
	s_load_b32 s54, s[8:9], 0x1c
	v_fmac_f32_e32 v50, s15, v4
	ds_load_2addr_b32 v[3:4], v5 offset0:20 offset1:21
	ds_load_2addr_b32 v[10:11], v5 offset0:22 offset1:23
	v_fmac_f32_e32 v2, s27, v8
	ds_load_2addr_b32 v[7:8], v5 offset0:32 offset1:33
	v_fmac_f32_e32 v50, s11, v14
	s_clause 0x3
	s_load_b32 s11, s[8:9], 0x14
	s_load_b32 s15, s[8:9], 0x18
	;; [unrolled: 1-line block ×4, first 2 shown]
	v_fmac_f32_e32 v2, s25, v9
	v_fmac_f32_e32 v50, s35, v15
	s_clause 0x1
	s_load_b32 s35, s[8:9], 0x10
	s_load_b32 s57, s[8:9], 0x10
	ds_load_2addr_b32 v[13:14], v5 offset0:48 offset1:49
	v_fmac_f32_e32 v2, s23, v20
	s_load_b64 s[36:37], s[8:9], 0x8
	v_fmac_f32_e32 v50, s29, v16
	ds_load_2addr_b32 v[15:16], v5 offset0:34 offset1:35
	v_fmac_f32_e32 v2, s7, v21
	v_fmac_f32_e32 v50, s31, v17
	ds_load_2addr_b32 v[17:18], v5 offset0:36 offset1:37
	ds_load_2addr_b32 v[19:20], v5 offset0:38 offset1:39
	;; [unrolled: 1-line block ×4, first 2 shown]
	s_waitcnt lgkmcnt(0)
	v_fmac_f32_e32 v2, s3, v3
	v_fmac_f32_e32 v50, s27, v7
	s_clause 0x3
	s_load_b32 s27, s[8:9], 0x8
	s_load_b32 s29, s[8:9], 0xc
	s_load_b32 s31, s[8:9], 0xc
	s_load_b32 s58, s[8:9], 0x8
	v_fmac_f32_e32 v50, s25, v8
	ds_load_2addr_b32 v[7:8], v5 offset0:52 offset1:53
	ds_load_2addr_b32 v[25:26], v5 offset0:54 offset1:55
	v_fmac_f32_e32 v51, s45, v13
	s_clause 0x1
	s_load_b32 s25, s[8:9], 0x0
	s_load_b64 s[38:39], s[8:9], 0x0
	ds_load_2addr_b32 v[27:28], v5 offset0:58 offset1:59
	v_fmac_f32_e32 v2, s37, v4
	v_fmac_f32_e32 v50, s23, v15
	s_load_b32 s23, s[8:9], 0x4
	v_fmac_f32_e32 v51, s13, v14
	ds_load_2addr_b32 v[13:14], v5 offset0:60 offset1:61
	ds_load_2addr_b32 v[29:30], v5 offset0:62 offset1:63
	;; [unrolled: 1-line block ×3, first 2 shown]
	v_fmac_f32_e32 v50, s7, v16
	v_fma_f32 v52, s21, v21, 0
	v_fmac_f32_e32 v51, s15, v23
	s_load_b32 s59, s[8:9], 0x4
	v_fmac_f32_e32 v2, s1, v10
	v_fmac_f32_e32 v50, s3, v17
	;; [unrolled: 1-line block ×3, first 2 shown]
	s_clause 0x1
	s_load_b32 s3, s[8:9], 0x0
	s_load_b32 s4, s[8:9], 0x0
	ds_load_2addr_b32 v[9:10], v5 offset0:74 offset1:75
	ds_load_2addr_b32 v[15:16], v5 offset0:88 offset1:89
	v_dual_fmac_f32 v51, s11, v24 :: v_dual_fmac_f32 v50, s37, v18
	s_waitcnt lgkmcnt(0)
	v_fmac_f32_e32 v2, s39, v11
	v_fmac_f32_e32 v52, s33, v27
	s_delay_alu instid0(VALU_DEP_3) | instskip(SKIP_1) | instid1(VALU_DEP_4)
	v_fmac_f32_e32 v51, s35, v7
	v_fmac_f32_e32 v50, s1, v19
	;; [unrolled: 1-line block ×3, first 2 shown]
	s_delay_alu instid0(VALU_DEP_4)
	v_fmac_f32_e32 v52, s48, v28
	v_fma_f32 v53, s21, v3, 0
	v_fmac_f32_e32 v51, s29, v8
	ds_load_2addr_b32 v[7:8], v5 offset0:76 offset1:77
	ds_load_2addr_b32 v[11:12], v5 offset0:78 offset1:79
	v_fmac_f32_e32 v50, s39, v20
	v_dual_fmac_f32 v52, s50, v13 :: v_dual_fmac_f32 v53, s20, v4
	ds_load_2addr_b32 v[17:18], v5 offset0:104 offset1:105
	ds_load_2addr_b32 v[19:20], v5 offset0:120 offset1:121
	v_dual_fmac_f32 v51, s27, v25 :: v_dual_fmac_f32 v52, s46, v14
	ds_load_2addr_b32 v[13:14], v5 offset0:90 offset1:91
	v_fmac_f32_e32 v53, s44, v9
	ds_load_2addr_b32 v[22:23], v5 offset0:92 offset1:93
	ds_load_2addr_b32 v[24:25], v5 offset0:94 offset1:95
	v_fmac_f32_e32 v51, s23, v26
	v_fmac_f32_e32 v50, s25, v6
	v_fma_f32 v4, s52, v15, 0
	v_fmac_f32_e32 v53, s42, v10
	ds_load_2addr_b32 v[9:10], v5 offset0:64 offset1:65
	v_fmac_f32_e32 v52, s47, v29
	v_dual_fmac_f32 v51, s3, v21 :: v_dual_fmac_f32 v4, s20, v16
	s_waitcnt lgkmcnt(7)
	v_fmac_f32_e32 v53, s43, v7
	ds_load_2addr_b32 v[6:7], v5 offset0:106 offset1:107
	ds_load_2addr_b32 v[26:27], v5 offset0:122 offset1:123
	v_fmac_f32_e32 v52, s49, v30
	ds_load_2addr_b32 v[28:29], v5 offset0:108 offset1:109
	ds_load_2addr_b32 v[30:31], v5 offset0:110 offset1:111
	;; [unrolled: 1-line block ×4, first 2 shown]
	s_waitcnt lgkmcnt(11)
	v_fma_f32 v16, s52, v17, 0
	s_waitcnt lgkmcnt(10)
	v_fma_f32 v54, s53, v19, 0
	v_fmac_f32_e32 v53, s41, v8
	ds_load_2addr_b32 v[36:37], v5 offset0:66 offset1:67
	ds_load_2addr_b32 v[38:39], v5 offset0:68 offset1:69
	;; [unrolled: 1-line block ×3, first 2 shown]
	s_waitcnt lgkmcnt(12)
	v_fmac_f32_e32 v4, s44, v13
	v_fmac_f32_e32 v16, s18, v18
	v_dual_fmac_f32 v54, s18, v20 :: v_dual_fmac_f32 v53, s19, v11
	s_delay_alu instid0(VALU_DEP_3)
	v_fmac_f32_e32 v4, s42, v14
	ds_load_2addr_b32 v[13:14], v5 offset0:80 offset1:81
	s_waitcnt lgkmcnt(10)
	v_fmac_f32_e32 v52, s45, v9
	ds_load_2addr_b32 v[8:9], v5 offset0:96 offset1:97
	v_dual_fmac_f32 v53, s40, v12 :: v_dual_fmac_f32 v4, s43, v22
	s_waitcnt lgkmcnt(10)
	v_fmac_f32_e32 v16, s16, v6
	s_waitcnt lgkmcnt(9)
	v_fmac_f32_e32 v54, s16, v26
	v_fmac_f32_e32 v52, s13, v10
	;; [unrolled: 1-line block ×4, first 2 shown]
	s_delay_alu instid0(VALU_DEP_4)
	v_fmac_f32_e32 v54, s12, v27
	ds_load_2addr_b32 v[6:7], v5 offset0:82 offset1:83
	ds_load_2addr_b32 v[11:12], v5 offset0:84 offset1:85
	;; [unrolled: 1-line block ×5, first 2 shown]
	s_waitcnt lgkmcnt(13)
	v_fmac_f32_e32 v16, s14, v28
	s_waitcnt lgkmcnt(11)
	v_fmac_f32_e32 v54, s14, v32
	v_fmac_f32_e32 v4, s19, v24
	s_waitcnt lgkmcnt(9)
	v_fmac_f32_e32 v52, s15, v36
	v_fmac_f32_e32 v16, s10, v29
	ds_load_2addr_b32 v[28:29], v5 offset0:114 offset1:115
	v_fmac_f32_e32 v54, s10, v33
	v_fmac_f32_e32 v4, s40, v25
	ds_load_2addr_b32 v[24:25], v5 offset0:98 offset1:99
	v_fmac_f32_e32 v16, s34, v30
	ds_load_2addr_b32 v[32:33], v5 offset0:130 offset1:131
	ds_load_2addr_b32 v[42:43], v5 offset0:100 offset1:101
	;; [unrolled: 1-line block ×3, first 2 shown]
	s_waitcnt lgkmcnt(11)
	v_dual_fmac_f32 v54, s34, v34 :: v_dual_fmac_f32 v53, s17, v13
	s_waitcnt lgkmcnt(10)
	v_fmac_f32_e32 v4, s17, v8
	v_fmac_f32_e32 v16, s28, v31
	;; [unrolled: 1-line block ×4, first 2 shown]
	ds_load_2addr_b32 v[30:31], v5 offset0:116 offset1:117
	ds_load_2addr_b32 v[34:35], v5 offset0:118 offset1:119
	;; [unrolled: 1-line block ×4, first 2 shown]
	s_waitcnt lgkmcnt(10)
	v_fmac_f32_e32 v16, s30, v22
	v_fmac_f32_e32 v53, s54, v14
	s_waitcnt lgkmcnt(9)
	v_fmac_f32_e32 v54, s30, v26
	v_fmac_f32_e32 v4, s54, v9
	;; [unrolled: 1-line block ×3, first 2 shown]
	v_dual_fmac_f32 v16, s26, v23 :: v_dual_fmac_f32 v53, s55, v6
	s_delay_alu instid0(VALU_DEP_4)
	v_fmac_f32_e32 v54, s26, v27
	ds_load_b32 v5, v5 offset:544
	s_waitcnt lgkmcnt(8)
	v_fmac_f32_e32 v4, s55, v24
	v_dual_fmac_f32 v16, s24, v28 :: v_dual_fmac_f32 v53, s56, v7
	s_waitcnt lgkmcnt(7)
	v_fmac_f32_e32 v54, s24, v32
	v_fmac_f32_e32 v52, s29, v39
	;; [unrolled: 1-line block ×3, first 2 shown]
	v_dual_fmac_f32 v16, s22, v29 :: v_dual_fmac_f32 v53, s57, v11
	s_delay_alu instid0(VALU_DEP_4) | instskip(NEXT) | instid1(VALU_DEP_4)
	v_fmac_f32_e32 v54, s22, v33
	v_fmac_f32_e32 v52, s27, v40
	s_waitcnt lgkmcnt(6)
	v_fmac_f32_e32 v4, s57, v42
	s_waitcnt lgkmcnt(4)
	v_dual_fmac_f32 v16, s6, v30 :: v_dual_fmac_f32 v53, s31, v12
	s_waitcnt lgkmcnt(2)
	v_fmac_f32_e32 v54, s6, v46
	v_fmac_f32_e32 v52, s23, v41
	;; [unrolled: 1-line block ×3, first 2 shown]
	v_dual_fmac_f32 v16, s2, v31 :: v_dual_fmac_f32 v53, s58, v20
	s_delay_alu instid0(VALU_DEP_4) | instskip(NEXT) | instid1(VALU_DEP_4)
	v_fmac_f32_e32 v54, s2, v47
	v_fmac_f32_e32 v52, s3, v3
	s_delay_alu instid0(VALU_DEP_4) | instskip(NEXT) | instid1(VALU_DEP_4)
	v_fmac_f32_e32 v4, s58, v44
	v_dual_fmac_f32 v16, s36, v34 :: v_dual_fmac_f32 v53, s59, v21
	s_waitcnt lgkmcnt(1)
	v_fmac_f32_e32 v54, s36, v48
	s_delay_alu instid0(VALU_DEP_3) | instskip(NEXT) | instid1(VALU_DEP_3)
	v_fmac_f32_e32 v4, s59, v45
	v_fmac_f32_e32 v16, s0, v35
	s_delay_alu instid0(VALU_DEP_3) | instskip(NEXT) | instid1(VALU_DEP_3)
	v_dual_fmac_f32 v53, s4, v15 :: v_dual_fmac_f32 v54, s0, v49
	v_fmac_f32_e32 v4, s4, v17
	s_delay_alu instid0(VALU_DEP_3) | instskip(SKIP_1) | instid1(VALU_DEP_3)
	v_fmac_f32_e32 v16, s38, v19
	s_waitcnt lgkmcnt(0)
	v_fmac_f32_e32 v54, s38, v5
	s_clause 0x7
	global_store_b32 v[0:1], v2, off offset:64
	global_store_b32 v[0:1], v50, off offset:128
	;; [unrolled: 1-line block ×8, first 2 shown]
	s_nop 0
	s_sendmsg sendmsg(MSG_DEALLOC_VGPRS)
	s_endpgm
	.section	.rodata,"a",@progbits
	.p2align	6, 0x0
	.amdhsa_kernel _Z9conv_rowsPfPKfS1_iii
		.amdhsa_group_segment_fixed_size 2560
		.amdhsa_private_segment_fixed_size 0
		.amdhsa_kernarg_size 36
		.amdhsa_user_sgpr_count 14
		.amdhsa_user_sgpr_dispatch_ptr 0
		.amdhsa_user_sgpr_queue_ptr 0
		.amdhsa_user_sgpr_kernarg_segment_ptr 1
		.amdhsa_user_sgpr_dispatch_id 0
		.amdhsa_user_sgpr_private_segment_size 0
		.amdhsa_wavefront_size32 1
		.amdhsa_uses_dynamic_stack 0
		.amdhsa_enable_private_segment 0
		.amdhsa_system_sgpr_workgroup_id_x 1
		.amdhsa_system_sgpr_workgroup_id_y 1
		.amdhsa_system_sgpr_workgroup_id_z 0
		.amdhsa_system_sgpr_workgroup_info 0
		.amdhsa_system_vgpr_workitem_id 1
		.amdhsa_next_free_vgpr 55
		.amdhsa_next_free_sgpr 60
		.amdhsa_reserve_vcc 1
		.amdhsa_float_round_mode_32 0
		.amdhsa_float_round_mode_16_64 0
		.amdhsa_float_denorm_mode_32 3
		.amdhsa_float_denorm_mode_16_64 3
		.amdhsa_dx10_clamp 1
		.amdhsa_ieee_mode 1
		.amdhsa_fp16_overflow 0
		.amdhsa_workgroup_processor_mode 1
		.amdhsa_memory_ordered 1
		.amdhsa_forward_progress 0
		.amdhsa_shared_vgpr_count 0
		.amdhsa_exception_fp_ieee_invalid_op 0
		.amdhsa_exception_fp_denorm_src 0
		.amdhsa_exception_fp_ieee_div_zero 0
		.amdhsa_exception_fp_ieee_overflow 0
		.amdhsa_exception_fp_ieee_underflow 0
		.amdhsa_exception_fp_ieee_inexact 0
		.amdhsa_exception_int_div_zero 0
	.end_amdhsa_kernel
	.text
.Lfunc_end0:
	.size	_Z9conv_rowsPfPKfS1_iii, .Lfunc_end0-_Z9conv_rowsPfPKfS1_iii
                                        ; -- End function
	.section	.AMDGPU.csdata,"",@progbits
; Kernel info:
; codeLenInByte = 2184
; NumSgprs: 62
; NumVgprs: 55
; ScratchSize: 0
; MemoryBound: 0
; FloatMode: 240
; IeeeMode: 1
; LDSByteSize: 2560 bytes/workgroup (compile time only)
; SGPRBlocks: 7
; VGPRBlocks: 6
; NumSGPRsForWavesPerEU: 62
; NumVGPRsForWavesPerEU: 55
; Occupancy: 16
; WaveLimiterHint : 0
; COMPUTE_PGM_RSRC2:SCRATCH_EN: 0
; COMPUTE_PGM_RSRC2:USER_SGPR: 14
; COMPUTE_PGM_RSRC2:TRAP_HANDLER: 0
; COMPUTE_PGM_RSRC2:TGID_X_EN: 1
; COMPUTE_PGM_RSRC2:TGID_Y_EN: 1
; COMPUTE_PGM_RSRC2:TGID_Z_EN: 0
; COMPUTE_PGM_RSRC2:TIDIG_COMP_CNT: 1
	.text
	.protected	_Z9conv_colsPfPKfS1_iii ; -- Begin function _Z9conv_colsPfPKfS1_iii
	.globl	_Z9conv_colsPfPKfS1_iii
	.p2align	8
	.type	_Z9conv_colsPfPKfS1_iii,@function
_Z9conv_colsPfPKfS1_iii:                ; @_Z9conv_colsPfPKfS1_iii
; %bb.0:
	s_load_b64 s[2:3], s[0:1], 0x1c
	v_bfe_u32 v6, v0, 10, 10
	s_lshl_b32 s4, s15, 6
	v_and_b32_e32 v22, 0x3ff, v0
	s_lshl_b32 s8, s14, 4
	s_delay_alu instid0(VALU_DEP_2) | instskip(SKIP_3) | instid1(VALU_DEP_2)
	v_add3_u32 v7, v6, s4, -8
	s_load_b128 s[4:7], s[0:1], 0x0
	v_lshlrev_b32_e32 v6, 2, v6
	s_waitcnt lgkmcnt(0)
	v_mul_lo_u32 v1, v7, s3
	s_ashr_i32 s11, s3, 31
	s_mov_b32 s10, s3
	s_delay_alu instid0(VALU_DEP_1) | instskip(SKIP_2) | instid1(SALU_CYCLE_1)
	v_add3_u32 v0, s8, v22, v1
	s_load_b64 s[8:9], s[0:1], 0x10
	s_lshl_b32 s0, s3, 3
	s_ashr_i32 s1, s0, 31
	s_delay_alu instid0(VALU_DEP_1) | instskip(SKIP_2) | instid1(VALU_DEP_1)
	v_ashrrev_i32_e32 v1, 31, v0
	s_lshl_b64 s[18:19], s[0:1], 2
	s_lshl_b64 s[0:1], s[10:11], 5
	v_lshlrev_b64 v[0:1], 2, v[0:1]
	s_delay_alu instid0(VALU_DEP_1) | instskip(NEXT) | instid1(VALU_DEP_2)
	v_add_co_u32 v2, vcc_lo, s6, v0
	v_add_co_ci_u32_e32 v3, vcc_lo, s7, v1, vcc_lo
	s_mov_b32 s6, exec_lo
	s_delay_alu instid0(VALU_DEP_2) | instskip(NEXT) | instid1(VALU_DEP_2)
	v_add_co_u32 v8, vcc_lo, v2, s18
	v_add_co_ci_u32_e32 v9, vcc_lo, s19, v3, vcc_lo
	s_delay_alu instid0(VALU_DEP_2) | instskip(NEXT) | instid1(VALU_DEP_2)
	v_add_co_u32 v10, vcc_lo, v8, s0
	v_add_co_ci_u32_e32 v11, vcc_lo, s1, v9, vcc_lo
	;; [unrolled: 3-line block ×8, first 2 shown]
	s_clause 0x4
	global_load_b32 v23, v[8:9], off
	global_load_b32 v10, v[10:11], off
	;; [unrolled: 1-line block ×8, first 2 shown]
	v_dual_mov_b32 v8, 0 :: v_dual_mov_b32 v9, 0
	v_mad_u32_u24 v6, 0x144, v22, v6
	s_waitcnt vmcnt(6)
	ds_store_2addr_b32 v6, v23, v10 offset0:8 offset1:16
	s_waitcnt vmcnt(4)
	ds_store_2addr_b32 v6, v11, v12 offset0:24 offset1:32
	s_waitcnt vmcnt(2)
	ds_store_2addr_b32 v6, v13, v14 offset0:40 offset1:48
	s_waitcnt vmcnt(0)
	ds_store_2addr_b32 v6, v15, v16 offset0:56 offset1:64
	v_cmpx_lt_i32_e32 -1, v7
	s_cbranch_execz .LBB1_2
; %bb.1:
	global_load_b32 v9, v[2:3], off
.LBB1_2:
	s_or_b32 exec_lo, exec_lo, s6
	v_add_nc_u32_e32 v2, 0x48, v7
	s_waitcnt vmcnt(0)
	ds_store_b32 v6, v9
	v_cmp_gt_i32_e32 vcc_lo, s2, v2
	s_and_saveexec_b32 s2, vcc_lo
	s_cbranch_execz .LBB1_4
; %bb.3:
	v_add_co_u32 v2, vcc_lo, v4, s0
	v_add_co_ci_u32_e32 v3, vcc_lo, s1, v5, vcc_lo
	global_load_b32 v8, v[2:3], off
.LBB1_4:
	s_or_b32 exec_lo, exec_lo, s2
	s_waitcnt vmcnt(0)
	ds_store_b32 v6, v8 offset:288
	s_waitcnt lgkmcnt(0)
	s_barrier
	buffer_gl0_inv
	s_load_b64 s[16:17], s[8:9], 0x3c
	ds_load_2addr_b32 v[2:3], v6 offset1:1
	s_clause 0x1
	s_load_b64 s[14:15], s[8:9], 0x38
	s_load_b64 s[10:11], s[8:9], 0x34
	ds_load_2addr_b32 v[4:5], v6 offset0:2 offset1:3
	s_clause 0x2
	s_load_b64 s[0:1], s[8:9], 0x8
	s_load_b64 s[6:7], s[8:9], 0x14
	;; [unrolled: 1-line block ×3, first 2 shown]
	ds_load_2addr_b32 v[7:8], v6 offset0:4 offset1:5
	ds_load_2addr_b32 v[9:10], v6 offset0:6 offset1:7
	;; [unrolled: 1-line block ×3, first 2 shown]
	s_clause 0x9
	s_load_b64 s[22:23], s[8:9], 0x3c
	s_load_b32 s33, s[8:9], 0x38
	s_load_b32 s48, s[8:9], 0x38
	s_load_b64 s[38:39], s[8:9], 0x2c
	s_load_b64 s[20:21], s[8:9], 0x1c
	s_load_b32 s49, s[8:9], 0x34
	s_load_b32 s46, s[8:9], 0x34
	s_load_b64 s[36:37], s[8:9], 0x28
	s_load_b64 s[24:25], s[8:9], 0x20
	;; [unrolled: 1-line block ×3, first 2 shown]
	v_add_co_u32 v30, vcc_lo, s4, v0
	v_add_co_ci_u32_e32 v31, vcc_lo, s5, v1, vcc_lo
	s_lshl_b32 s4, s3, 4
	s_delay_alu instid0(VALU_DEP_2) | instskip(NEXT) | instid1(VALU_DEP_2)
	v_add_co_u32 v0, vcc_lo, v30, s18
	v_add_co_ci_u32_e32 v1, vcc_lo, s19, v31, vcc_lo
	s_ashr_i32 s5, s4, 31
	s_delay_alu instid0(SALU_CYCLE_1) | instskip(SKIP_3) | instid1(VALU_DEP_2)
	s_lshl_b64 s[4:5], s[4:5], 2
	s_waitcnt lgkmcnt(0)
	v_fma_f32 v21, s17, v2, 0
	v_fma_f32 v22, s17, v11, 0
	v_fmac_f32_e32 v21, s15, v3
	ds_load_2addr_b32 v[2:3], v6 offset0:10 offset1:11
	s_clause 0x3
	s_load_b32 s50, s[8:9], 0x2c
	s_load_b32 s51, s[8:9], 0x30
	;; [unrolled: 1-line block ×4, first 2 shown]
	v_fmac_f32_e32 v22, s15, v12
	s_waitcnt lgkmcnt(0)
	s_delay_alu instid0(VALU_DEP_1) | instskip(NEXT) | instid1(VALU_DEP_1)
	v_dual_fmac_f32 v21, s11, v4 :: v_dual_fmac_f32 v22, s11, v2
	v_fmac_f32_e32 v21, s13, v5
	ds_load_2addr_b32 v[4:5], v6 offset0:12 offset1:13
	ds_load_2addr_b32 v[13:14], v6 offset0:14 offset1:15
	s_clause 0x1
	s_load_b32 s52, s[8:9], 0x28
	s_load_b32 s44, s[8:9], 0x28
	ds_load_2addr_b32 v[15:16], v6 offset0:16 offset1:17
	v_fmac_f32_e32 v22, s13, v3
	s_clause 0x7
	s_load_b64 s[26:27], s[8:9], 0x18
	s_load_b32 s53, s[8:9], 0x20
	s_load_b32 s54, s[8:9], 0x24
	;; [unrolled: 1-line block ×7, first 2 shown]
	v_fmac_f32_e32 v21, s39, v7
	s_clause 0x1
	s_load_b64 s[28:29], s[8:9], 0xc
	s_load_b64 s[30:31], s[8:9], 0x10
	s_waitcnt lgkmcnt(0)
	v_fmac_f32_e32 v22, s39, v4
	v_fmac_f32_e32 v21, s37, v8
	ds_load_2addr_b32 v[7:8], v6 offset0:18 offset1:19
	v_fma_f32 v27, s23, v15, 0
	s_clause 0x2
	s_load_b32 s39, s[8:9], 0x18
	s_load_b32 s13, s[8:9], 0x18
	;; [unrolled: 1-line block ×3, first 2 shown]
	v_dual_fmac_f32 v22, s37, v5 :: v_dual_fmac_f32 v27, s56, v16
	s_delay_alu instid0(VALU_DEP_1) | instskip(NEXT) | instid1(VALU_DEP_1)
	v_fmac_f32_e32 v22, s35, v13
	v_dual_fmac_f32 v21, s35, v9 :: v_dual_fmac_f32 v22, s25, v14
	s_delay_alu instid0(VALU_DEP_1) | instskip(NEXT) | instid1(VALU_DEP_1)
	v_dual_fmac_f32 v21, s25, v10 :: v_dual_fmac_f32 v22, s21, v15
	v_dual_fmac_f32 v21, s21, v11 :: v_dual_fmac_f32 v22, s27, v16
	s_delay_alu instid0(VALU_DEP_1)
	v_fmac_f32_e32 v21, s27, v12
	ds_load_2addr_b32 v[9:10], v6 offset0:20 offset1:21
	ds_load_2addr_b32 v[11:12], v6 offset0:22 offset1:23
	s_clause 0x4
	s_load_b32 s37, s[8:9], 0x10
	s_load_b32 s57, s[8:9], 0x40
	;; [unrolled: 1-line block ×4, first 2 shown]
	s_load_b64 s[42:43], s[8:9], 0x4
	s_waitcnt lgkmcnt(0)
	v_dual_fmac_f32 v22, s7, v7 :: v_dual_fmac_f32 v21, s7, v2
	ds_load_2addr_b32 v[17:18], v6 offset0:24 offset1:25
	s_clause 0x4
	s_load_b32 s59, s[8:9], 0x0
	s_load_b64 s[40:41], s[8:9], 0x0
	s_load_b32 s60, s[8:9], 0xc
	s_load_b32 s61, s[8:9], 0xc
	;; [unrolled: 1-line block ×3, first 2 shown]
	v_dual_fmac_f32 v22, s31, v8 :: v_dual_fmac_f32 v27, s33, v7
	s_delay_alu instid0(VALU_DEP_1)
	v_dual_fmac_f32 v22, s29, v9 :: v_dual_fmac_f32 v21, s31, v3
	ds_load_2addr_b32 v[2:3], v6 offset0:26 offset1:27
	s_clause 0x1
	s_load_b32 s27, s[8:9], 0x4
	s_load_b32 s21, s[8:9], 0x4
	v_dual_fmac_f32 v22, s1, v10 :: v_dual_fmac_f32 v27, s49, v8
	s_waitcnt lgkmcnt(0)
	v_fma_f32 v29, s23, v17, 0
	s_delay_alu instid0(VALU_DEP_2) | instskip(NEXT) | instid1(VALU_DEP_2)
	v_dual_fmac_f32 v22, s43, v11 :: v_dual_fmac_f32 v27, s51, v9
	v_fmac_f32_e32 v29, s56, v18
	v_add_co_u32 v9, vcc_lo, v30, s4
	s_delay_alu instid0(VALU_DEP_3) | instskip(SKIP_2) | instid1(VALU_DEP_2)
	v_fmac_f32_e32 v22, s41, v12
	v_fmac_f32_e32 v21, s29, v4
	s_mul_i32 s4, s3, 24
	v_fmac_f32_e32 v22, s59, v17
	s_delay_alu instid0(VALU_DEP_2)
	v_fmac_f32_e32 v21, s1, v5
	ds_load_2addr_b32 v[4:5], v6 offset0:28 offset1:29
	ds_load_2addr_b32 v[19:20], v6 offset0:30 offset1:31
	s_clause 0x2
	s_load_b32 s23, s[8:9], 0x14
	s_load_b32 s31, s[8:9], 0x0
	;; [unrolled: 1-line block ×3, first 2 shown]
	v_fmac_f32_e32 v29, s33, v2
	v_fmac_f32_e32 v21, s43, v13
	s_load_b32 s1, s[8:9], 0x8
	ds_load_2addr_b32 v[7:8], v6 offset0:40 offset1:41
	v_fmac_f32_e32 v29, s49, v3
	v_fmac_f32_e32 v21, s41, v14
	s_delay_alu instid0(VALU_DEP_1)
	v_fmac_f32_e32 v21, s59, v15
	global_store_b32 v[0:1], v21, off
	ds_load_2addr_b32 v[0:1], v6 offset0:32 offset1:33
	v_fmac_f32_e32 v27, s50, v10
	s_waitcnt lgkmcnt(0)
	v_fmac_f32_e32 v29, s51, v4
	v_add_co_ci_u32_e32 v10, vcc_lo, s5, v31, vcc_lo
	s_ashr_i32 s5, s4, 31
	v_fmac_f32_e32 v27, s52, v11
	s_delay_alu instid0(VALU_DEP_3)
	v_fmac_f32_e32 v29, s50, v5
	s_lshl_b64 s[4:5], s[4:5], 2
	v_fma_f32 v33, s57, v7, 0
	v_add_co_u32 v21, vcc_lo, v30, s4
	v_fmac_f32_e32 v27, s54, v12
	s_lshl_b32 s4, s3, 5
	s_delay_alu instid0(VALU_DEP_1) | instskip(NEXT) | instid1(VALU_DEP_1)
	v_fmac_f32_e32 v27, s53, v17
	v_fmac_f32_e32 v27, s55, v18
	s_delay_alu instid0(VALU_DEP_1) | instskip(NEXT) | instid1(VALU_DEP_1)
	v_fmac_f32_e32 v27, s39, v2
	v_fmac_f32_e32 v27, s23, v3
	ds_load_2addr_b32 v[2:3], v6 offset0:34 offset1:35
	v_fma_f32 v32, s57, v0, 0
	s_delay_alu instid0(VALU_DEP_1) | instskip(NEXT) | instid1(VALU_DEP_1)
	v_dual_fmac_f32 v27, s37, v4 :: v_dual_fmac_f32 v32, s22, v1
	v_fmac_f32_e32 v27, s60, v5
	ds_load_2addr_b32 v[4:5], v6 offset0:36 offset1:37
	ds_load_2addr_b32 v[11:12], v6 offset0:38 offset1:39
	global_store_b32 v[9:10], v22, off
	ds_load_2addr_b32 v[9:10], v6 offset0:42 offset1:43
	v_add_co_ci_u32_e32 v22, vcc_lo, s5, v31, vcc_lo
	v_fmac_f32_e32 v27, s1, v19
	s_ashr_i32 s5, s4, 31
	s_delay_alu instid0(SALU_CYCLE_1) | instskip(SKIP_1) | instid1(VALU_DEP_1)
	s_lshl_b64 s[4:5], s[4:5], 2
	s_waitcnt lgkmcnt(3)
	v_dual_fmac_f32 v32, s48, v2 :: v_dual_fmac_f32 v27, s27, v20
	s_delay_alu instid0(VALU_DEP_1) | instskip(SKIP_1) | instid1(VALU_DEP_1)
	v_fmac_f32_e32 v32, s46, v3
	s_waitcnt lgkmcnt(2)
	v_fmac_f32_e32 v32, s47, v4
	s_delay_alu instid0(VALU_DEP_1) | instskip(SKIP_1) | instid1(VALU_DEP_1)
	v_fmac_f32_e32 v32, s45, v5
	s_waitcnt lgkmcnt(1)
	v_fmac_f32_e32 v32, s44, v11
	s_delay_alu instid0(VALU_DEP_1) | instskip(NEXT) | instid1(VALU_DEP_1)
	v_fmac_f32_e32 v32, s17, v12
	v_fmac_f32_e32 v32, s15, v7
	s_delay_alu instid0(VALU_DEP_1) | instskip(SKIP_1) | instid1(VALU_DEP_1)
	v_fmac_f32_e32 v32, s11, v8
	s_waitcnt lgkmcnt(0)
	v_dual_fmac_f32 v32, s13, v9 :: v_dual_fmac_f32 v29, s52, v19
	s_delay_alu instid0(VALU_DEP_1) | instskip(NEXT) | instid1(VALU_DEP_1)
	v_dual_fmac_f32 v32, s2, v10 :: v_dual_fmac_f32 v29, s54, v20
	v_fmac_f32_e32 v29, s53, v0
	s_delay_alu instid0(VALU_DEP_1) | instskip(NEXT) | instid1(VALU_DEP_1)
	v_fmac_f32_e32 v29, s55, v1
	v_fmac_f32_e32 v29, s39, v2
	ds_load_2addr_b32 v[1:2], v6 offset0:48 offset1:49
	ds_load_2addr_b32 v[13:14], v6 offset0:44 offset1:45
	;; [unrolled: 1-line block ×5, first 2 shown]
	s_waitcnt lgkmcnt(4)
	v_fma_f32 v34, s58, v1, 0
	s_waitcnt lgkmcnt(3)
	v_fmac_f32_e32 v32, s35, v13
	s_waitcnt lgkmcnt(0)
	v_fma_f32 v35, s58, v19, 0
	v_fmac_f32_e32 v34, s16, v2
	s_delay_alu instid0(VALU_DEP_2) | instskip(NEXT) | instid1(VALU_DEP_2)
	v_dual_fmac_f32 v32, s61, v14 :: v_dual_fmac_f32 v35, s16, v20
	v_fmac_f32_e32 v34, s14, v17
	s_delay_alu instid0(VALU_DEP_2) | instskip(NEXT) | instid1(VALU_DEP_2)
	v_fmac_f32_e32 v32, s25, v15
	v_fmac_f32_e32 v34, s10, v18
	s_delay_alu instid0(VALU_DEP_2) | instskip(NEXT) | instid1(VALU_DEP_1)
	v_dual_fmac_f32 v32, s21, v16 :: v_dual_fmac_f32 v29, s23, v3
	v_dual_fmac_f32 v32, s7, v1 :: v_dual_fmac_f32 v29, s37, v4
	ds_load_2addr_b32 v[3:4], v6 offset0:52 offset1:53
	ds_load_2addr_b32 v[23:24], v6 offset0:54 offset1:55
	ds_load_2addr_b32 v[25:26], v6 offset0:58 offset1:59
	s_waitcnt lgkmcnt(0)
	v_dual_fmac_f32 v34, s12, v3 :: v_dual_fmac_f32 v35, s14, v25
	s_delay_alu instid0(VALU_DEP_1) | instskip(NEXT) | instid1(VALU_DEP_1)
	v_dual_fmac_f32 v34, s38, v4 :: v_dual_fmac_f32 v35, s10, v26
	v_fmac_f32_e32 v34, s36, v23
	s_delay_alu instid0(VALU_DEP_1) | instskip(NEXT) | instid1(VALU_DEP_1)
	v_fmac_f32_e32 v34, s34, v24
	v_fmac_f32_e32 v34, s24, v19
	s_delay_alu instid0(VALU_DEP_1) | instskip(NEXT) | instid1(VALU_DEP_1)
	v_fmac_f32_e32 v34, s20, v20
	v_dual_fmac_f32 v34, s26, v25 :: v_dual_fmac_f32 v27, s31, v0
	s_delay_alu instid0(VALU_DEP_1)
	v_fmac_f32_e32 v34, s6, v26
	global_store_b32 v[21:22], v27, off
	ds_load_2addr_b32 v[21:22], v6 offset0:60 offset1:61
	ds_load_2addr_b32 v[27:28], v6 offset0:62 offset1:63
	s_waitcnt lgkmcnt(1)
	v_dual_fmac_f32 v33, s22, v8 :: v_dual_fmac_f32 v34, s30, v21
	s_delay_alu instid0(VALU_DEP_1) | instskip(NEXT) | instid1(VALU_DEP_2)
	v_dual_fmac_f32 v35, s12, v21 :: v_dual_fmac_f32 v34, s28, v22
	v_fmac_f32_e32 v33, s48, v9
	s_waitcnt lgkmcnt(0)
	s_delay_alu instid0(VALU_DEP_2) | instskip(SKIP_1) | instid1(VALU_DEP_2)
	v_dual_fmac_f32 v35, s38, v22 :: v_dual_fmac_f32 v34, s0, v27
	v_fmac_f32_e32 v29, s60, v5
	v_dual_fmac_f32 v35, s36, v27 :: v_dual_fmac_f32 v34, s42, v28
	s_delay_alu instid0(VALU_DEP_2) | instskip(NEXT) | instid1(VALU_DEP_2)
	v_fmac_f32_e32 v29, s1, v11
	v_fmac_f32_e32 v35, s34, v28
	v_add_co_u32 v11, vcc_lo, v30, s4
	s_mul_i32 s4, s3, 40
	s_delay_alu instid0(VALU_DEP_3) | instskip(SKIP_2) | instid1(VALU_DEP_2)
	v_fmac_f32_e32 v29, s27, v12
	v_add_co_ci_u32_e32 v12, vcc_lo, s5, v31, vcc_lo
	s_ashr_i32 s5, s4, 31
	v_fmac_f32_e32 v29, s31, v7
	ds_load_2addr_b32 v[7:8], v6 offset0:64 offset1:65
	v_fmac_f32_e32 v33, s46, v10
	ds_load_2addr_b32 v[9:10], v6 offset0:66 offset1:67
	s_lshl_b64 s[4:5], s[4:5], 2
	s_delay_alu instid0(SALU_CYCLE_1) | instskip(SKIP_4) | instid1(VALU_DEP_2)
	v_add_co_u32 v0, vcc_lo, v30, s4
	s_mul_i32 s4, s3, 48
	s_waitcnt lgkmcnt(1)
	v_dual_fmac_f32 v34, s40, v7 :: v_dual_fmac_f32 v33, s47, v13
	v_fmac_f32_e32 v35, s24, v7
	v_fmac_f32_e32 v33, s45, v14
	s_delay_alu instid0(VALU_DEP_2) | instskip(NEXT) | instid1(VALU_DEP_2)
	v_fmac_f32_e32 v35, s20, v8
	v_fmac_f32_e32 v33, s44, v15
	s_waitcnt lgkmcnt(0)
	s_delay_alu instid0(VALU_DEP_2) | instskip(NEXT) | instid1(VALU_DEP_2)
	v_fmac_f32_e32 v35, s26, v9
	v_fmac_f32_e32 v33, s17, v16
	s_delay_alu instid0(VALU_DEP_2) | instskip(SKIP_1) | instid1(VALU_DEP_2)
	v_fmac_f32_e32 v35, s6, v10
	s_mul_i32 s6, s3, 56
	v_fmac_f32_e32 v33, s15, v1
	v_add_co_ci_u32_e32 v1, vcc_lo, s5, v31, vcc_lo
	s_ashr_i32 s5, s4, 31
	s_delay_alu instid0(VALU_DEP_2) | instskip(SKIP_1) | instid1(SALU_CYCLE_1)
	v_fmac_f32_e32 v33, s11, v2
	s_lshl_b64 s[4:5], s[4:5], 2
	v_add_co_u32 v2, vcc_lo, v30, s4
	s_delay_alu instid0(VALU_DEP_2) | instskip(NEXT) | instid1(VALU_DEP_1)
	v_fmac_f32_e32 v33, s13, v17
	v_fmac_f32_e32 v33, s2, v18
	ds_load_2addr_b32 v[13:14], v6 offset0:68 offset1:69
	ds_load_2addr_b32 v[17:18], v6 offset0:70 offset1:71
	ds_load_b32 v6, v6 offset:288
	s_lshl_b32 s2, s3, 6
	v_fmac_f32_e32 v33, s35, v3
	v_add_co_ci_u32_e32 v3, vcc_lo, s5, v31, vcc_lo
	s_ashr_i32 s3, s2, 31
	s_delay_alu instid0(VALU_DEP_2) | instskip(NEXT) | instid1(VALU_DEP_1)
	v_fmac_f32_e32 v33, s61, v4
	v_fmac_f32_e32 v33, s25, v23
	s_waitcnt lgkmcnt(2)
	v_fmac_f32_e32 v35, s30, v13
	s_delay_alu instid0(VALU_DEP_2) | instskip(NEXT) | instid1(VALU_DEP_2)
	v_fmac_f32_e32 v33, s21, v24
	v_fmac_f32_e32 v35, s28, v14
	s_delay_alu instid0(VALU_DEP_2) | instskip(SKIP_2) | instid1(VALU_DEP_2)
	v_fmac_f32_e32 v33, s7, v19
	s_ashr_i32 s7, s6, 31
	s_waitcnt lgkmcnt(1)
	v_fmac_f32_e32 v35, s0, v17
	s_lshl_b64 s[0:1], s[6:7], 2
	s_delay_alu instid0(SALU_CYCLE_1) | instskip(NEXT) | instid1(VALU_DEP_2)
	v_add_co_u32 v4, vcc_lo, v30, s0
	v_fmac_f32_e32 v35, s42, v18
	v_add_co_ci_u32_e32 v5, vcc_lo, s1, v31, vcc_lo
	s_lshl_b64 s[0:1], s[2:3], 2
	s_waitcnt lgkmcnt(0)
	s_delay_alu instid0(VALU_DEP_2)
	v_fmac_f32_e32 v35, s40, v6
	v_add_co_u32 v6, vcc_lo, v30, s0
	v_add_co_ci_u32_e32 v7, vcc_lo, s1, v31, vcc_lo
	s_clause 0x4
	global_store_b32 v[11:12], v29, off
	global_store_b32 v[0:1], v32, off
	;; [unrolled: 1-line block ×5, first 2 shown]
	s_nop 0
	s_sendmsg sendmsg(MSG_DEALLOC_VGPRS)
	s_endpgm
	.section	.rodata,"a",@progbits
	.p2align	6, 0x0
	.amdhsa_kernel _Z9conv_colsPfPKfS1_iii
		.amdhsa_group_segment_fixed_size 5184
		.amdhsa_private_segment_fixed_size 0
		.amdhsa_kernarg_size 36
		.amdhsa_user_sgpr_count 14
		.amdhsa_user_sgpr_dispatch_ptr 0
		.amdhsa_user_sgpr_queue_ptr 0
		.amdhsa_user_sgpr_kernarg_segment_ptr 1
		.amdhsa_user_sgpr_dispatch_id 0
		.amdhsa_user_sgpr_private_segment_size 0
		.amdhsa_wavefront_size32 1
		.amdhsa_uses_dynamic_stack 0
		.amdhsa_enable_private_segment 0
		.amdhsa_system_sgpr_workgroup_id_x 1
		.amdhsa_system_sgpr_workgroup_id_y 1
		.amdhsa_system_sgpr_workgroup_id_z 0
		.amdhsa_system_sgpr_workgroup_info 0
		.amdhsa_system_vgpr_workitem_id 1
		.amdhsa_next_free_vgpr 36
		.amdhsa_next_free_sgpr 62
		.amdhsa_reserve_vcc 1
		.amdhsa_float_round_mode_32 0
		.amdhsa_float_round_mode_16_64 0
		.amdhsa_float_denorm_mode_32 3
		.amdhsa_float_denorm_mode_16_64 3
		.amdhsa_dx10_clamp 1
		.amdhsa_ieee_mode 1
		.amdhsa_fp16_overflow 0
		.amdhsa_workgroup_processor_mode 1
		.amdhsa_memory_ordered 1
		.amdhsa_forward_progress 0
		.amdhsa_shared_vgpr_count 0
		.amdhsa_exception_fp_ieee_invalid_op 0
		.amdhsa_exception_fp_denorm_src 0
		.amdhsa_exception_fp_ieee_div_zero 0
		.amdhsa_exception_fp_ieee_overflow 0
		.amdhsa_exception_fp_ieee_underflow 0
		.amdhsa_exception_fp_ieee_inexact 0
		.amdhsa_exception_int_div_zero 0
	.end_amdhsa_kernel
	.text
.Lfunc_end1:
	.size	_Z9conv_colsPfPKfS1_iii, .Lfunc_end1-_Z9conv_colsPfPKfS1_iii
                                        ; -- End function
	.section	.AMDGPU.csdata,"",@progbits
; Kernel info:
; codeLenInByte = 2376
; NumSgprs: 64
; NumVgprs: 36
; ScratchSize: 0
; MemoryBound: 0
; FloatMode: 240
; IeeeMode: 1
; LDSByteSize: 5184 bytes/workgroup (compile time only)
; SGPRBlocks: 7
; VGPRBlocks: 4
; NumSGPRsForWavesPerEU: 64
; NumVGPRsForWavesPerEU: 36
; Occupancy: 16
; WaveLimiterHint : 0
; COMPUTE_PGM_RSRC2:SCRATCH_EN: 0
; COMPUTE_PGM_RSRC2:USER_SGPR: 14
; COMPUTE_PGM_RSRC2:TRAP_HANDLER: 0
; COMPUTE_PGM_RSRC2:TGID_X_EN: 1
; COMPUTE_PGM_RSRC2:TGID_Y_EN: 1
; COMPUTE_PGM_RSRC2:TGID_Z_EN: 0
; COMPUTE_PGM_RSRC2:TIDIG_COMP_CNT: 1
	.text
	.p2alignl 7, 3214868480
	.fill 96, 4, 3214868480
	.type	__hip_cuid_c7c7ea197191540c,@object ; @__hip_cuid_c7c7ea197191540c
	.section	.bss,"aw",@nobits
	.globl	__hip_cuid_c7c7ea197191540c
__hip_cuid_c7c7ea197191540c:
	.byte	0                               ; 0x0
	.size	__hip_cuid_c7c7ea197191540c, 1

	.ident	"AMD clang version 19.0.0git (https://github.com/RadeonOpenCompute/llvm-project roc-6.4.0 25133 c7fe45cf4b819c5991fe208aaa96edf142730f1d)"
	.section	".note.GNU-stack","",@progbits
	.addrsig
	.addrsig_sym __hip_cuid_c7c7ea197191540c
	.amdgpu_metadata
---
amdhsa.kernels:
  - .args:
      - .actual_access:  write_only
        .address_space:  global
        .offset:         0
        .size:           8
        .value_kind:     global_buffer
      - .actual_access:  read_only
        .address_space:  global
        .offset:         8
        .size:           8
        .value_kind:     global_buffer
      - .actual_access:  read_only
        .address_space:  global
        .offset:         16
        .size:           8
        .value_kind:     global_buffer
      - .offset:         24
        .size:           4
        .value_kind:     by_value
      - .offset:         28
        .size:           4
        .value_kind:     by_value
      - .offset:         32
        .size:           4
        .value_kind:     by_value
    .group_segment_fixed_size: 2560
    .kernarg_segment_align: 8
    .kernarg_segment_size: 36
    .language:       OpenCL C
    .language_version:
      - 2
      - 0
    .max_flat_workgroup_size: 1024
    .name:           _Z9conv_rowsPfPKfS1_iii
    .private_segment_fixed_size: 0
    .sgpr_count:     62
    .sgpr_spill_count: 0
    .symbol:         _Z9conv_rowsPfPKfS1_iii.kd
    .uniform_work_group_size: 1
    .uses_dynamic_stack: false
    .vgpr_count:     55
    .vgpr_spill_count: 0
    .wavefront_size: 32
    .workgroup_processor_mode: 1
  - .args:
      - .actual_access:  write_only
        .address_space:  global
        .offset:         0
        .size:           8
        .value_kind:     global_buffer
      - .actual_access:  read_only
        .address_space:  global
        .offset:         8
        .size:           8
        .value_kind:     global_buffer
      - .actual_access:  read_only
        .address_space:  global
        .offset:         16
        .size:           8
        .value_kind:     global_buffer
      - .offset:         24
        .size:           4
        .value_kind:     by_value
      - .offset:         28
        .size:           4
        .value_kind:     by_value
      - .offset:         32
        .size:           4
        .value_kind:     by_value
    .group_segment_fixed_size: 5184
    .kernarg_segment_align: 8
    .kernarg_segment_size: 36
    .language:       OpenCL C
    .language_version:
      - 2
      - 0
    .max_flat_workgroup_size: 1024
    .name:           _Z9conv_colsPfPKfS1_iii
    .private_segment_fixed_size: 0
    .sgpr_count:     64
    .sgpr_spill_count: 0
    .symbol:         _Z9conv_colsPfPKfS1_iii.kd
    .uniform_work_group_size: 1
    .uses_dynamic_stack: false
    .vgpr_count:     36
    .vgpr_spill_count: 0
    .wavefront_size: 32
    .workgroup_processor_mode: 1
amdhsa.target:   amdgcn-amd-amdhsa--gfx1100
amdhsa.version:
  - 1
  - 2
...

	.end_amdgpu_metadata
